;; amdgpu-corpus repo=ROCm/rocFFT kind=compiled arch=gfx906 opt=O3
	.text
	.amdgcn_target "amdgcn-amd-amdhsa--gfx906"
	.amdhsa_code_object_version 6
	.protected	fft_rtc_back_len135_factors_5_3_3_3_wgs_126_tpt_9_halfLds_dp_ip_CI_unitstride_sbrr_dirReg ; -- Begin function fft_rtc_back_len135_factors_5_3_3_3_wgs_126_tpt_9_halfLds_dp_ip_CI_unitstride_sbrr_dirReg
	.globl	fft_rtc_back_len135_factors_5_3_3_3_wgs_126_tpt_9_halfLds_dp_ip_CI_unitstride_sbrr_dirReg
	.p2align	8
	.type	fft_rtc_back_len135_factors_5_3_3_3_wgs_126_tpt_9_halfLds_dp_ip_CI_unitstride_sbrr_dirReg,@function
fft_rtc_back_len135_factors_5_3_3_3_wgs_126_tpt_9_halfLds_dp_ip_CI_unitstride_sbrr_dirReg: ; @fft_rtc_back_len135_factors_5_3_3_3_wgs_126_tpt_9_halfLds_dp_ip_CI_unitstride_sbrr_dirReg
; %bb.0:
	v_mul_u32_u24_e32 v1, 0x1c72, v0
	s_load_dwordx2 s[2:3], s[4:5], 0x50
	s_load_dwordx4 s[8:11], s[4:5], 0x0
	s_load_dwordx2 s[12:13], s[4:5], 0x18
	v_lshrrev_b32_e32 v1, 16, v1
	v_mad_u64_u32 v[64:65], s[0:1], s6, 14, v[1:2]
	v_mov_b32_e32 v3, 0
	s_waitcnt lgkmcnt(0)
	v_cmp_lt_u64_e64 s[0:1], s[10:11], 2
	v_mov_b32_e32 v65, v3
	v_mov_b32_e32 v1, 0
	;; [unrolled: 1-line block ×3, first 2 shown]
	s_and_b64 vcc, exec, s[0:1]
	v_mov_b32_e32 v2, 0
	v_mov_b32_e32 v8, v65
	s_cbranch_vccnz .LBB0_8
; %bb.1:
	s_load_dwordx2 s[0:1], s[4:5], 0x10
	s_add_u32 s6, s12, 8
	s_addc_u32 s7, s13, 0
	v_mov_b32_e32 v1, 0
	v_mov_b32_e32 v5, v64
	s_waitcnt lgkmcnt(0)
	s_add_u32 s16, s0, 8
	s_mov_b64 s[14:15], 1
	v_mov_b32_e32 v2, 0
	s_addc_u32 s17, s1, 0
	v_mov_b32_e32 v6, v65
.LBB0_2:                                ; =>This Inner Loop Header: Depth=1
	s_load_dwordx2 s[18:19], s[16:17], 0x0
                                        ; implicit-def: $vgpr7_vgpr8
	s_waitcnt lgkmcnt(0)
	v_or_b32_e32 v4, s19, v6
	v_cmp_ne_u64_e32 vcc, 0, v[3:4]
	s_and_saveexec_b64 s[0:1], vcc
	s_xor_b64 s[20:21], exec, s[0:1]
	s_cbranch_execz .LBB0_4
; %bb.3:                                ;   in Loop: Header=BB0_2 Depth=1
	v_cvt_f32_u32_e32 v4, s18
	v_cvt_f32_u32_e32 v7, s19
	s_sub_u32 s0, 0, s18
	s_subb_u32 s1, 0, s19
	v_mac_f32_e32 v4, 0x4f800000, v7
	v_rcp_f32_e32 v4, v4
	v_mul_f32_e32 v4, 0x5f7ffffc, v4
	v_mul_f32_e32 v7, 0x2f800000, v4
	v_trunc_f32_e32 v7, v7
	v_mac_f32_e32 v4, 0xcf800000, v7
	v_cvt_u32_f32_e32 v7, v7
	v_cvt_u32_f32_e32 v4, v4
	v_mul_lo_u32 v8, s0, v7
	v_mul_hi_u32 v9, s0, v4
	v_mul_lo_u32 v11, s1, v4
	v_mul_lo_u32 v10, s0, v4
	v_add_u32_e32 v8, v9, v8
	v_add_u32_e32 v8, v8, v11
	v_mul_hi_u32 v9, v4, v10
	v_mul_lo_u32 v11, v4, v8
	v_mul_hi_u32 v13, v4, v8
	v_mul_hi_u32 v12, v7, v10
	v_mul_lo_u32 v10, v7, v10
	v_mul_hi_u32 v14, v7, v8
	v_add_co_u32_e32 v9, vcc, v9, v11
	v_addc_co_u32_e32 v11, vcc, 0, v13, vcc
	v_mul_lo_u32 v8, v7, v8
	v_add_co_u32_e32 v9, vcc, v9, v10
	v_addc_co_u32_e32 v9, vcc, v11, v12, vcc
	v_addc_co_u32_e32 v10, vcc, 0, v14, vcc
	v_add_co_u32_e32 v8, vcc, v9, v8
	v_addc_co_u32_e32 v9, vcc, 0, v10, vcc
	v_add_co_u32_e32 v4, vcc, v4, v8
	v_addc_co_u32_e32 v7, vcc, v7, v9, vcc
	v_mul_lo_u32 v8, s0, v7
	v_mul_hi_u32 v9, s0, v4
	v_mul_lo_u32 v10, s1, v4
	v_mul_lo_u32 v11, s0, v4
	v_add_u32_e32 v8, v9, v8
	v_add_u32_e32 v8, v8, v10
	v_mul_lo_u32 v12, v4, v8
	v_mul_hi_u32 v13, v4, v11
	v_mul_hi_u32 v14, v4, v8
	;; [unrolled: 1-line block ×3, first 2 shown]
	v_mul_lo_u32 v11, v7, v11
	v_mul_hi_u32 v9, v7, v8
	v_add_co_u32_e32 v12, vcc, v13, v12
	v_addc_co_u32_e32 v13, vcc, 0, v14, vcc
	v_mul_lo_u32 v8, v7, v8
	v_add_co_u32_e32 v11, vcc, v12, v11
	v_addc_co_u32_e32 v10, vcc, v13, v10, vcc
	v_addc_co_u32_e32 v9, vcc, 0, v9, vcc
	v_add_co_u32_e32 v8, vcc, v10, v8
	v_addc_co_u32_e32 v9, vcc, 0, v9, vcc
	v_add_co_u32_e32 v4, vcc, v4, v8
	v_addc_co_u32_e32 v9, vcc, v7, v9, vcc
	v_mad_u64_u32 v[7:8], s[0:1], v5, v9, 0
	v_mul_hi_u32 v10, v5, v4
	v_add_co_u32_e32 v11, vcc, v10, v7
	v_addc_co_u32_e32 v12, vcc, 0, v8, vcc
	v_mad_u64_u32 v[7:8], s[0:1], v6, v4, 0
	v_mad_u64_u32 v[9:10], s[0:1], v6, v9, 0
	v_add_co_u32_e32 v4, vcc, v11, v7
	v_addc_co_u32_e32 v4, vcc, v12, v8, vcc
	v_addc_co_u32_e32 v7, vcc, 0, v10, vcc
	v_add_co_u32_e32 v4, vcc, v4, v9
	v_addc_co_u32_e32 v9, vcc, 0, v7, vcc
	v_mul_lo_u32 v10, s19, v4
	v_mul_lo_u32 v11, s18, v9
	v_mad_u64_u32 v[7:8], s[0:1], s18, v4, 0
	v_add3_u32 v8, v8, v11, v10
	v_sub_u32_e32 v10, v6, v8
	v_mov_b32_e32 v11, s19
	v_sub_co_u32_e32 v7, vcc, v5, v7
	v_subb_co_u32_e64 v10, s[0:1], v10, v11, vcc
	v_subrev_co_u32_e64 v11, s[0:1], s18, v7
	v_subbrev_co_u32_e64 v10, s[0:1], 0, v10, s[0:1]
	v_cmp_le_u32_e64 s[0:1], s19, v10
	v_cndmask_b32_e64 v12, 0, -1, s[0:1]
	v_cmp_le_u32_e64 s[0:1], s18, v11
	v_cndmask_b32_e64 v11, 0, -1, s[0:1]
	v_cmp_eq_u32_e64 s[0:1], s19, v10
	v_cndmask_b32_e64 v10, v12, v11, s[0:1]
	v_add_co_u32_e64 v11, s[0:1], 2, v4
	v_addc_co_u32_e64 v12, s[0:1], 0, v9, s[0:1]
	v_add_co_u32_e64 v13, s[0:1], 1, v4
	v_addc_co_u32_e64 v14, s[0:1], 0, v9, s[0:1]
	v_subb_co_u32_e32 v8, vcc, v6, v8, vcc
	v_cmp_ne_u32_e64 s[0:1], 0, v10
	v_cmp_le_u32_e32 vcc, s19, v8
	v_cndmask_b32_e64 v10, v14, v12, s[0:1]
	v_cndmask_b32_e64 v12, 0, -1, vcc
	v_cmp_le_u32_e32 vcc, s18, v7
	v_cndmask_b32_e64 v7, 0, -1, vcc
	v_cmp_eq_u32_e32 vcc, s19, v8
	v_cndmask_b32_e32 v7, v12, v7, vcc
	v_cmp_ne_u32_e32 vcc, 0, v7
	v_cndmask_b32_e64 v7, v13, v11, s[0:1]
	v_cndmask_b32_e32 v8, v9, v10, vcc
	v_cndmask_b32_e32 v7, v4, v7, vcc
.LBB0_4:                                ;   in Loop: Header=BB0_2 Depth=1
	s_andn2_saveexec_b64 s[0:1], s[20:21]
	s_cbranch_execz .LBB0_6
; %bb.5:                                ;   in Loop: Header=BB0_2 Depth=1
	v_cvt_f32_u32_e32 v4, s18
	s_sub_i32 s20, 0, s18
	v_rcp_iflag_f32_e32 v4, v4
	v_mul_f32_e32 v4, 0x4f7ffffe, v4
	v_cvt_u32_f32_e32 v4, v4
	v_mul_lo_u32 v7, s20, v4
	v_mul_hi_u32 v7, v4, v7
	v_add_u32_e32 v4, v4, v7
	v_mul_hi_u32 v4, v5, v4
	v_mul_lo_u32 v7, v4, s18
	v_add_u32_e32 v8, 1, v4
	v_sub_u32_e32 v7, v5, v7
	v_subrev_u32_e32 v9, s18, v7
	v_cmp_le_u32_e32 vcc, s18, v7
	v_cndmask_b32_e32 v7, v7, v9, vcc
	v_cndmask_b32_e32 v4, v4, v8, vcc
	v_add_u32_e32 v8, 1, v4
	v_cmp_le_u32_e32 vcc, s18, v7
	v_cndmask_b32_e32 v7, v4, v8, vcc
	v_mov_b32_e32 v8, v3
.LBB0_6:                                ;   in Loop: Header=BB0_2 Depth=1
	s_or_b64 exec, exec, s[0:1]
	v_mul_lo_u32 v4, v8, s18
	v_mul_lo_u32 v11, v7, s19
	v_mad_u64_u32 v[9:10], s[0:1], v7, s18, 0
	s_load_dwordx2 s[0:1], s[6:7], 0x0
	s_add_u32 s14, s14, 1
	v_add3_u32 v4, v10, v11, v4
	v_sub_co_u32_e32 v5, vcc, v5, v9
	v_subb_co_u32_e32 v4, vcc, v6, v4, vcc
	s_waitcnt lgkmcnt(0)
	v_mul_lo_u32 v4, s0, v4
	v_mul_lo_u32 v6, s1, v5
	v_mad_u64_u32 v[1:2], s[0:1], s0, v5, v[1:2]
	s_addc_u32 s15, s15, 0
	s_add_u32 s6, s6, 8
	v_add3_u32 v2, v6, v2, v4
	v_mov_b32_e32 v4, s10
	v_mov_b32_e32 v5, s11
	s_addc_u32 s7, s7, 0
	v_cmp_ge_u64_e32 vcc, s[14:15], v[4:5]
	s_add_u32 s16, s16, 8
	s_addc_u32 s17, s17, 0
	s_cbranch_vccnz .LBB0_8
; %bb.7:                                ;   in Loop: Header=BB0_2 Depth=1
	v_mov_b32_e32 v5, v7
	v_mov_b32_e32 v6, v8
	s_branch .LBB0_2
.LBB0_8:
	s_lshl_b64 s[0:1], s[10:11], 3
	s_add_u32 s0, s12, s0
	s_addc_u32 s1, s13, s1
	s_load_dwordx2 s[6:7], s[0:1], 0x0
	s_load_dwordx2 s[10:11], s[4:5], 0x20
                                        ; implicit-def: $vgpr10_vgpr11
                                        ; implicit-def: $vgpr18_vgpr19
                                        ; implicit-def: $vgpr14_vgpr15
                                        ; implicit-def: $vgpr22_vgpr23
                                        ; implicit-def: $vgpr26_vgpr27
                                        ; implicit-def: $vgpr30_vgpr31
                                        ; implicit-def: $vgpr38_vgpr39
                                        ; implicit-def: $vgpr34_vgpr35
                                        ; implicit-def: $vgpr42_vgpr43
                                        ; implicit-def: $vgpr54_vgpr55
                                        ; implicit-def: $vgpr50_vgpr51
                                        ; implicit-def: $vgpr58_vgpr59
                                        ; implicit-def: $vgpr46_vgpr47
	s_waitcnt lgkmcnt(0)
	v_mad_u64_u32 v[1:2], s[0:1], s6, v7, v[1:2]
	v_mul_lo_u32 v3, s6, v8
	v_mul_lo_u32 v4, s7, v7
	s_mov_b32 s0, 0x1c71c71d
	v_mul_hi_u32 v5, v0, s0
	v_cmp_gt_u64_e32 vcc, s[10:11], v[7:8]
	v_add3_u32 v2, v4, v2, v3
	v_lshlrev_b64 v[62:63], 4, v[1:2]
	v_mul_u32_u24_e32 v3, 9, v5
	v_sub_u32_e32 v60, v0, v3
                                        ; implicit-def: $vgpr2_vgpr3
                                        ; implicit-def: $vgpr6_vgpr7
	s_and_saveexec_b64 s[4:5], vcc
	s_cbranch_execz .LBB0_10
; %bb.9:
	v_mov_b32_e32 v61, 0
	v_mov_b32_e32 v0, s3
	v_add_co_u32_e64 v2, s[0:1], s2, v62
	v_addc_co_u32_e64 v3, s[0:1], v0, v63, s[0:1]
	v_lshlrev_b64 v[0:1], 4, v[60:61]
	v_add_co_u32_e64 v65, s[0:1], v2, v0
	v_addc_co_u32_e64 v66, s[0:1], v3, v1, s[0:1]
	global_load_dwordx4 v[44:47], v[65:66], off
	global_load_dwordx4 v[32:35], v[65:66], off offset:144
	global_load_dwordx4 v[48:51], v[65:66], off offset:864
	;; [unrolled: 1-line block ×14, first 2 shown]
.LBB0_10:
	s_or_b64 exec, exec, s[4:5]
	s_waitcnt vmcnt(4)
	v_add_f64 v[65:66], v[52:53], v[48:49]
	v_add_f64 v[67:68], v[56:57], -v[48:49]
	v_add_f64 v[69:70], v[40:41], -v[52:53]
	v_lshrrev_b32_e32 v61, 1, v64
	s_mov_b32 s0, 0x92492493
	v_mul_hi_u32 v61, v61, s0
	v_add_f64 v[71:72], v[58:59], -v[42:43]
	s_mov_b32 s10, 0x134454ff
	v_fma_f64 v[65:66], v[65:66], -0.5, v[44:45]
	v_lshrrev_b32_e32 v61, 2, v61
	v_add_f64 v[67:68], v[69:70], v[67:68]
	v_add_f64 v[69:70], v[40:41], v[56:57]
	v_mul_lo_u32 v61, v61, 14
	s_mov_b32 s11, 0xbfee6f0e
	s_mov_b32 s5, 0x3fee6f0e
	;; [unrolled: 1-line block ×3, first 2 shown]
	v_sub_u32_e32 v61, v64, v61
	v_add_f64 v[73:74], v[50:51], -v[54:55]
	v_fma_f64 v[75:76], v[71:72], s[10:11], v[65:66]
	v_fma_f64 v[69:70], v[69:70], -0.5, v[44:45]
	v_fma_f64 v[64:65], v[71:72], s[4:5], v[65:66]
	s_mov_b32 s0, 0x4755a5e
	s_mov_b32 s1, 0xbfe2cf23
	;; [unrolled: 1-line block ×4, first 2 shown]
	v_add_f64 v[77:78], v[48:49], -v[56:57]
	v_add_f64 v[79:80], v[52:53], -v[40:41]
	v_fma_f64 v[81:82], v[73:74], s[4:5], v[69:70]
	v_fma_f64 v[69:70], v[73:74], s[10:11], v[69:70]
	v_add_f64 v[83:84], v[54:55], v[50:51]
	v_add_f64 v[85:86], v[42:43], v[58:59]
	v_fma_f64 v[75:76], v[73:74], s[0:1], v[75:76]
	v_fma_f64 v[64:65], v[73:74], s[6:7], v[64:65]
	s_mov_b32 s12, 0x372fe950
	s_mov_b32 s13, 0x3fd3c6ef
	v_add_f64 v[73:74], v[79:80], v[77:78]
	v_fma_f64 v[77:78], v[71:72], s[0:1], v[81:82]
	v_fma_f64 v[69:70], v[71:72], s[6:7], v[69:70]
	v_fma_f64 v[71:72], v[83:84], -0.5, v[46:47]
	v_fma_f64 v[79:80], v[85:86], -0.5, v[46:47]
	v_add_f64 v[44:45], v[56:57], v[44:45]
	v_add_f64 v[46:47], v[58:59], v[46:47]
	v_fma_f64 v[75:76], v[67:68], s[12:13], v[75:76]
	v_fma_f64 v[64:65], v[67:68], s[12:13], v[64:65]
	v_add_f64 v[66:67], v[58:59], -v[50:51]
	v_add_f64 v[81:82], v[42:43], -v[54:55]
	;; [unrolled: 1-line block ×3, first 2 shown]
	v_fma_f64 v[77:78], v[73:74], s[12:13], v[77:78]
	v_fma_f64 v[68:69], v[73:74], s[12:13], v[69:70]
	v_add_f64 v[73:74], v[48:49], -v[52:53]
	v_add_f64 v[58:59], v[50:51], -v[58:59]
	v_add_f64 v[44:45], v[48:49], v[44:45]
	v_add_f64 v[46:47], v[50:51], v[46:47]
	;; [unrolled: 1-line block ×3, first 2 shown]
	v_fma_f64 v[50:51], v[56:57], s[4:5], v[71:72]
	v_fma_f64 v[66:67], v[56:57], s[10:11], v[71:72]
	v_add_f64 v[70:71], v[54:55], -v[42:43]
	v_fma_f64 v[81:82], v[73:74], s[10:11], v[79:80]
	v_fma_f64 v[79:80], v[73:74], s[4:5], v[79:80]
	v_add_f64 v[44:45], v[52:53], v[44:45]
	v_add_f64 v[46:47], v[54:55], v[46:47]
	s_waitcnt vmcnt(2)
	v_add_f64 v[52:53], v[24:25], v[28:29]
	v_fma_f64 v[50:51], v[73:74], s[6:7], v[50:51]
	v_fma_f64 v[54:55], v[73:74], s[0:1], v[66:67]
	v_add_f64 v[58:59], v[70:71], v[58:59]
	v_add_f64 v[70:71], v[20:21], v[36:37]
	v_fma_f64 v[66:67], v[56:57], s[6:7], v[81:82]
	v_fma_f64 v[56:57], v[56:57], s[0:1], v[79:80]
	v_add_f64 v[40:41], v[40:41], v[44:45]
	v_fma_f64 v[44:45], v[52:53], -0.5, v[32:33]
	v_add_f64 v[42:43], v[42:43], v[46:47]
	v_add_f64 v[46:47], v[38:39], -v[22:23]
	v_fma_f64 v[50:51], v[48:49], s[12:13], v[50:51]
	v_fma_f64 v[48:49], v[48:49], s[12:13], v[54:55]
	v_fma_f64 v[54:55], v[70:71], -0.5, v[32:33]
	v_add_f64 v[70:71], v[30:31], -v[26:27]
	v_add_f64 v[52:53], v[36:37], -v[28:29]
	;; [unrolled: 1-line block ×3, first 2 shown]
	v_fma_f64 v[66:67], v[58:59], s[12:13], v[66:67]
	v_fma_f64 v[56:57], v[58:59], s[12:13], v[56:57]
	;; [unrolled: 1-line block ×4, first 2 shown]
	v_add_f64 v[79:80], v[28:29], -v[36:37]
	v_add_f64 v[81:82], v[24:25], -v[20:21]
	v_fma_f64 v[83:84], v[70:71], s[4:5], v[54:55]
	v_fma_f64 v[54:55], v[70:71], s[10:11], v[54:55]
	v_add_f64 v[85:86], v[26:27], v[30:31]
	v_add_f64 v[87:88], v[22:23], v[38:39]
	;; [unrolled: 1-line block ×3, first 2 shown]
	v_fma_f64 v[58:59], v[70:71], s[0:1], v[58:59]
	v_fma_f64 v[44:45], v[70:71], s[6:7], v[44:45]
	v_add_f64 v[70:71], v[81:82], v[79:80]
	v_fma_f64 v[72:73], v[46:47], s[0:1], v[83:84]
	v_fma_f64 v[46:47], v[46:47], s[6:7], v[54:55]
	v_fma_f64 v[54:55], v[85:86], -0.5, v[34:35]
	v_fma_f64 v[79:80], v[87:88], -0.5, v[34:35]
	v_add_f64 v[32:33], v[36:37], v[32:33]
	v_add_f64 v[34:35], v[38:39], v[34:35]
	v_fma_f64 v[58:59], v[52:53], s[12:13], v[58:59]
	v_fma_f64 v[44:45], v[52:53], s[12:13], v[44:45]
	v_add_f64 v[52:53], v[38:39], -v[30:31]
	v_add_f64 v[81:82], v[22:23], -v[26:27]
	v_add_f64 v[36:37], v[36:37], -v[20:21]
	v_fma_f64 v[72:73], v[70:71], s[12:13], v[72:73]
	v_fma_f64 v[46:47], v[70:71], s[12:13], v[46:47]
	v_add_f64 v[70:71], v[28:29], -v[24:25]
	v_add_f64 v[38:39], v[30:31], -v[38:39]
	v_add_f64 v[28:29], v[28:29], v[32:33]
	v_add_f64 v[30:31], v[30:31], v[34:35]
	;; [unrolled: 1-line block ×3, first 2 shown]
	v_fma_f64 v[34:35], v[36:37], s[4:5], v[54:55]
	v_fma_f64 v[52:53], v[36:37], s[10:11], v[54:55]
	v_add_f64 v[54:55], v[26:27], -v[22:23]
	v_fma_f64 v[81:82], v[70:71], s[10:11], v[79:80]
	v_fma_f64 v[79:80], v[70:71], s[4:5], v[79:80]
	s_waitcnt vmcnt(1)
	v_add_f64 v[83:84], v[8:9], v[16:17]
	v_add_f64 v[24:25], v[24:25], v[28:29]
	;; [unrolled: 1-line block ×3, first 2 shown]
	v_fma_f64 v[28:29], v[70:71], s[6:7], v[34:35]
	v_fma_f64 v[30:31], v[70:71], s[0:1], v[52:53]
	v_add_f64 v[34:35], v[54:55], v[38:39]
	v_fma_f64 v[38:39], v[36:37], s[6:7], v[81:82]
	v_fma_f64 v[36:37], v[36:37], s[0:1], v[79:80]
	v_fma_f64 v[52:53], v[83:84], -0.5, v[12:13]
	s_waitcnt vmcnt(0)
	v_add_f64 v[54:55], v[6:7], -v[2:3]
	v_add_f64 v[20:21], v[20:21], v[24:25]
	v_add_f64 v[70:71], v[22:23], v[26:27]
	;; [unrolled: 1-line block ×3, first 2 shown]
	v_add_f64 v[24:25], v[4:5], -v[16:17]
	v_add_f64 v[26:27], v[0:1], -v[8:9]
	v_fma_f64 v[28:29], v[32:33], s[12:13], v[28:29]
	v_fma_f64 v[79:80], v[32:33], s[12:13], v[30:31]
	;; [unrolled: 1-line block ×3, first 2 shown]
	v_add_f64 v[32:33], v[18:19], -v[10:11]
	v_fma_f64 v[81:82], v[34:35], s[12:13], v[38:39]
	v_fma_f64 v[35:36], v[34:35], s[12:13], v[36:37]
	v_fma_f64 v[22:23], v[22:23], -0.5, v[12:13]
	v_fma_f64 v[37:38], v[54:55], s[4:5], v[52:53]
	v_add_f64 v[24:25], v[26:27], v[24:25]
	v_add_f64 v[26:27], v[10:11], v[18:19]
	;; [unrolled: 1-line block ×3, first 2 shown]
	v_add_f64 v[83:84], v[16:17], -v[4:5]
	v_add_f64 v[85:86], v[8:9], -v[0:1]
	v_add_f64 v[12:13], v[4:5], v[12:13]
	v_fma_f64 v[30:31], v[32:33], s[0:1], v[30:31]
	v_fma_f64 v[87:88], v[32:33], s[4:5], v[22:23]
	;; [unrolled: 1-line block ×4, first 2 shown]
	v_fma_f64 v[26:27], v[26:27], -0.5, v[14:15]
	v_fma_f64 v[32:33], v[52:53], -0.5, v[14:15]
	v_add_f64 v[14:15], v[6:7], v[14:15]
	v_add_f64 v[4:5], v[4:5], -v[0:1]
	v_add_f64 v[52:53], v[85:86], v[83:84]
	v_add_f64 v[85:86], v[16:17], -v[8:9]
	v_add_f64 v[12:13], v[16:17], v[12:13]
	v_fma_f64 v[83:84], v[54:55], s[0:1], v[87:88]
	v_fma_f64 v[22:23], v[54:55], s[6:7], v[22:23]
	v_add_f64 v[54:55], v[6:7], -v[18:19]
	v_add_f64 v[87:88], v[2:3], -v[10:11]
	v_add_f64 v[14:15], v[18:19], v[14:15]
	v_fma_f64 v[16:17], v[4:5], s[4:5], v[26:27]
	v_add_f64 v[6:7], v[18:19], -v[6:7]
	v_fma_f64 v[18:19], v[4:5], s[10:11], v[26:27]
	v_add_f64 v[26:27], v[10:11], -v[2:3]
	v_fma_f64 v[89:90], v[85:86], s[10:11], v[32:33]
	v_fma_f64 v[32:33], v[85:86], s[4:5], v[32:33]
	v_add_f64 v[8:9], v[8:9], v[12:13]
	v_add_f64 v[54:55], v[87:88], v[54:55]
	;; [unrolled: 1-line block ×3, first 2 shown]
	v_fma_f64 v[12:13], v[85:86], s[6:7], v[16:17]
	v_fma_f64 v[14:15], v[85:86], s[0:1], v[18:19]
	v_add_f64 v[6:7], v[26:27], v[6:7]
	v_fma_f64 v[16:17], v[4:5], s[6:7], v[89:90]
	v_fma_f64 v[4:5], v[4:5], s[0:1], v[32:33]
	;; [unrolled: 1-line block ×3, first 2 shown]
	v_mul_u32_u24_e32 v30, 0x87, v61
	v_add_f64 v[0:1], v[0:1], v[8:9]
	v_lshlrev_b32_e32 v9, 3, v30
	v_fma_f64 v[26:27], v[52:53], s[12:13], v[83:84]
	v_fma_f64 v[22:23], v[52:53], s[12:13], v[22:23]
	v_add_u32_e32 v8, 0, v9
	v_fma_f64 v[24:25], v[24:25], s[12:13], v[37:38]
	v_add_f64 v[10:11], v[2:3], v[10:11]
	v_fma_f64 v[52:53], v[54:55], s[12:13], v[12:13]
	v_mad_u32_u24 v37, v60, 40, v8
	v_fma_f64 v[83:84], v[6:7], s[12:13], v[16:17]
	v_fma_f64 v[85:86], v[6:7], s[12:13], v[4:5]
	ds_write2_b64 v37, v[40:41], v[75:76] offset1:1
	ds_write2_b64 v37, v[77:78], v[68:69] offset0:2 offset1:3
	ds_write2_b64 v37, v[20:21], v[58:59] offset0:45 offset1:46
	ds_write2_b64 v37, v[72:73], v[46:47] offset0:47 offset1:48
	ds_write2_b64 v37, v[64:65], v[44:45] offset0:4 offset1:49
	ds_write2_b64 v37, v[0:1], v[18:19] offset0:90 offset1:91
	ds_write2_b64 v37, v[26:27], v[22:23] offset0:92 offset1:93
	ds_write_b64 v37, v[24:25] offset:752
	v_lshlrev_b32_e32 v0, 3, v60
	v_fma_f64 v[54:55], v[54:55], s[12:13], v[14:15]
	v_add_u32_e32 v34, v8, v0
	v_add3_u32 v38, 0, v0, v9
	s_waitcnt lgkmcnt(0)
	s_barrier
	ds_read_b64 v[96:97], v34
	ds_read2_b64 v[12:15], v38 offset0:45 offset1:54
	ds_read2_b64 v[16:19], v38 offset0:81 offset1:90
	;; [unrolled: 1-line block ×7, first 2 shown]
	s_waitcnt lgkmcnt(0)
	s_barrier
	ds_write2_b64 v37, v[42:43], v[50:51] offset1:1
	ds_write2_b64 v37, v[66:67], v[56:57] offset0:2 offset1:3
	ds_write2_b64 v37, v[70:71], v[28:29] offset0:45 offset1:46
	;; [unrolled: 1-line block ×6, first 2 shown]
	ds_write_b64 v37, v[54:55] offset:752
	v_add_u32_e32 v10, -5, v60
	v_cmp_gt_u32_e64 s[0:1], 5, v60
	v_cndmask_b32_e64 v61, v10, v60, s[0:1]
	v_lshlrev_b32_e32 v28, 1, v61
	v_mov_b32_e32 v29, 0
	v_lshlrev_b64 v[35:36], 4, v[28:29]
	v_mov_b32_e32 v11, s9
	v_add_co_u32_e64 v72, s[0:1], s8, v35
	v_addc_co_u32_e64 v73, s[0:1], v11, v36, s[0:1]
	v_add_u32_e32 v39, 9, v60
	s_movk_i32 s0, 0xcd
	v_mul_lo_u16_sdwa v10, v39, s0 dst_sel:DWORD dst_unused:UNUSED_PAD src0_sel:BYTE_0 src1_sel:DWORD
	v_lshrrev_b16_e32 v28, 10, v10
	v_mul_lo_u16_e32 v10, 5, v28
	v_sub_u16_e32 v104, v39, v10
	v_mov_b32_e32 v10, 5
	s_waitcnt lgkmcnt(0)
	s_barrier
	global_load_dwordx4 v[40:43], v[72:73], off
	v_lshlrev_b32_sdwa v35, v10, v104 dst_sel:DWORD dst_unused:UNUSED_PAD src0_sel:DWORD src1_sel:BYTE_0
	global_load_dwordx4 v[44:47], v35, s[8:9]
	global_load_dwordx4 v[48:51], v35, s[8:9] offset:16
	v_add_u32_e32 v35, 18, v60
	v_mul_lo_u16_sdwa v36, v35, s0 dst_sel:DWORD dst_unused:UNUSED_PAD src0_sel:BYTE_0 src1_sel:DWORD
	v_lshrrev_b16_e32 v105, 10, v36
	v_mul_lo_u16_e32 v36, 5, v105
	v_sub_u16_e32 v106, v35, v36
	v_lshlrev_b32_sdwa v36, v10, v106 dst_sel:DWORD dst_unused:UNUSED_PAD src0_sel:DWORD src1_sel:BYTE_0
	global_load_dwordx4 v[52:55], v36, s[8:9]
	global_load_dwordx4 v[56:59], v36, s[8:9] offset:16
	v_add_u32_e32 v36, 27, v60
	v_mul_lo_u16_sdwa v37, v36, s0 dst_sel:DWORD dst_unused:UNUSED_PAD src0_sel:BYTE_0 src1_sel:DWORD
	v_lshrrev_b16_e32 v107, 10, v37
	v_mul_lo_u16_e32 v37, 5, v107
	v_sub_u16_e32 v108, v36, v37
	v_lshlrev_b32_sdwa v84, v10, v108 dst_sel:DWORD dst_unused:UNUSED_PAD src0_sel:DWORD src1_sel:BYTE_0
	global_load_dwordx4 v[64:67], v84, s[8:9]
	global_load_dwordx4 v[68:71], v[72:73], off offset:16
	v_add_u32_e32 v37, 36, v60
	v_mul_lo_u16_sdwa v72, v37, s0 dst_sel:DWORD dst_unused:UNUSED_PAD src0_sel:BYTE_0 src1_sel:DWORD
	v_lshrrev_b16_e32 v109, 10, v72
	v_mul_lo_u16_e32 v72, 5, v109
	v_sub_u16_e32 v110, v37, v72
	v_lshlrev_b32_sdwa v85, v10, v110 dst_sel:DWORD dst_unused:UNUSED_PAD src0_sel:DWORD src1_sel:BYTE_0
	global_load_dwordx4 v[72:75], v85, s[8:9]
	global_load_dwordx4 v[76:79], v84, s[8:9] offset:16
	global_load_dwordx4 v[80:83], v85, s[8:9] offset:16
	ds_read2_b64 v[84:87], v38 offset0:45 offset1:54
	ds_read2_b64 v[88:91], v38 offset0:99 offset1:108
	;; [unrolled: 1-line block ×3, first 2 shown]
	v_cmp_lt_u32_e64 s[0:1], 4, v60
	s_mov_b32 s4, 0xe8584caa
	s_mov_b32 s5, 0xbfebb67a
	;; [unrolled: 1-line block ×4, first 2 shown]
	s_waitcnt vmcnt(9) lgkmcnt(2)
	v_mul_f64 v[98:99], v[84:85], v[42:43]
	v_mul_f64 v[42:43], v[12:13], v[42:43]
	s_waitcnt vmcnt(8)
	v_mul_f64 v[100:101], v[86:87], v[46:47]
	s_waitcnt vmcnt(7) lgkmcnt(1)
	v_mul_f64 v[102:103], v[88:89], v[50:51]
	v_mul_f64 v[46:47], v[14:15], v[46:47]
	v_fma_f64 v[98:99], v[12:13], v[40:41], v[98:99]
	v_fma_f64 v[40:41], v[84:85], v[40:41], -v[42:43]
	v_fma_f64 v[84:85], v[14:15], v[44:45], v[100:101]
	v_mul_f64 v[12:13], v[20:21], v[50:51]
	s_waitcnt vmcnt(6) lgkmcnt(0)
	v_mul_f64 v[14:15], v[92:93], v[54:55]
	v_fma_f64 v[50:51], v[20:21], v[48:49], v[102:103]
	v_mul_f64 v[20:21], v[24:25], v[54:55]
	s_waitcnt vmcnt(4)
	v_mul_f64 v[54:55], v[94:95], v[66:67]
	v_fma_f64 v[42:43], v[86:87], v[44:45], -v[46:47]
	v_mul_f64 v[44:45], v[90:91], v[58:59]
	v_mul_f64 v[46:47], v[22:23], v[58:59]
	v_fma_f64 v[48:49], v[88:89], v[48:49], -v[12:13]
	v_fma_f64 v[58:59], v[24:25], v[52:53], v[14:15]
	ds_read2_b64 v[12:15], v38 offset0:81 offset1:90
	v_mul_f64 v[24:25], v[26:27], v[66:67]
	v_fma_f64 v[54:55], v[26:27], v[64:65], v[54:55]
	v_fma_f64 v[52:53], v[92:93], v[52:53], -v[20:21]
	v_fma_f64 v[66:67], v[22:23], v[56:57], v[44:45]
	s_waitcnt vmcnt(3) lgkmcnt(0)
	v_mul_f64 v[26:27], v[14:15], v[70:71]
	v_fma_f64 v[56:57], v[90:91], v[56:57], -v[46:47]
	v_mul_f64 v[44:45], v[18:19], v[70:71]
	s_waitcnt vmcnt(2)
	v_mul_f64 v[46:47], v[12:13], v[74:75]
	v_fma_f64 v[24:25], v[94:95], v[64:65], -v[24:25]
	v_mul_f64 v[64:65], v[16:17], v[74:75]
	ds_read2_b64 v[20:23], v38 offset0:117 offset1:126
	s_waitcnt vmcnt(1)
	v_mul_f64 v[74:75], v[30:31], v[78:79]
	v_fma_f64 v[26:27], v[18:19], v[68:69], v[26:27]
	s_waitcnt vmcnt(0)
	v_mul_f64 v[18:19], v[32:33], v[82:83]
	v_fma_f64 v[44:45], v[14:15], v[68:69], -v[44:45]
	s_waitcnt lgkmcnt(0)
	v_mul_f64 v[70:71], v[20:21], v[78:79]
	v_fma_f64 v[68:69], v[16:17], v[72:73], v[46:47]
	v_fma_f64 v[46:47], v[12:13], v[72:73], -v[64:65]
	v_mov_b32_e32 v16, 0x78
	v_cndmask_b32_e64 v16, 0, v16, s[0:1]
	v_add_f64 v[12:13], v[98:99], v[26:27]
	v_mul_f64 v[78:79], v[22:23], v[82:83]
	v_fma_f64 v[64:65], v[20:21], v[76:77], -v[74:75]
	v_fma_f64 v[30:31], v[30:31], v[76:77], v[70:71]
	v_fma_f64 v[70:71], v[22:23], v[80:81], -v[18:19]
	v_add_f64 v[14:15], v[96:97], v[98:99]
	v_add_u32_e32 v20, 0, v16
	v_add_f64 v[18:19], v[40:41], -v[44:45]
	v_fma_f64 v[16:17], v[12:13], -0.5, v[96:97]
	v_add_f64 v[22:23], v[84:85], v[50:51]
	v_lshlrev_b32_e32 v21, 3, v61
	v_add3_u32 v61, v20, v21, v9
	v_add_f64 v[76:77], v[42:43], -v[48:49]
	v_add_f64 v[20:21], v[14:15], v[26:27]
	v_fma_f64 v[32:33], v[32:33], v[80:81], v[78:79]
	ds_read_b64 v[72:73], v34
	ds_read2_b64 v[12:15], v38 offset0:9 offset1:18
	v_fma_f64 v[74:75], v[18:19], s[4:5], v[16:17]
	v_fma_f64 v[22:23], v[22:23], -0.5, v[4:5]
	v_add_f64 v[4:5], v[4:5], v[84:85]
	v_fma_f64 v[78:79], v[18:19], s[6:7], v[16:17]
	ds_read2_b64 v[16:19], v38 offset0:27 offset1:36
	s_waitcnt lgkmcnt(0)
	s_barrier
	ds_write2_b64 v61, v[20:21], v[74:75] offset1:5
	v_fma_f64 v[74:75], v[76:77], s[4:5], v[22:23]
	v_add_f64 v[20:21], v[4:5], v[50:51]
	ds_write_b64 v61, v[78:79] offset:80
	v_add_f64 v[78:79], v[58:59], v[66:67]
	s_movk_i32 s0, 0x78
	v_mov_b32_e32 v4, 3
	v_mad_u32_u24 v5, v28, s0, 0
	v_lshlrev_b32_sdwa v28, v4, v104 dst_sel:DWORD dst_unused:UNUSED_PAD src0_sel:DWORD src1_sel:BYTE_0
	v_add3_u32 v28, v5, v28, v9
	ds_write2_b64 v28, v[20:21], v[74:75] offset1:5
	v_add_f64 v[20:21], v[42:43], v[48:49]
	v_add_f64 v[74:75], v[52:53], v[56:57]
	;; [unrolled: 1-line block ×3, first 2 shown]
	v_fma_f64 v[22:23], v[76:77], s[6:7], v[22:23]
	v_add_f64 v[76:77], v[6:7], v[58:59]
	v_fma_f64 v[5:6], v[78:79], -0.5, v[6:7]
	v_add_f64 v[78:79], v[12:13], v[42:43]
	v_add_f64 v[42:43], v[52:53], -v[56:57]
	v_fma_f64 v[82:83], v[20:21], -0.5, v[12:13]
	v_fma_f64 v[74:75], v[74:75], -0.5, v[14:15]
	v_add_f64 v[52:53], v[14:15], v[52:53]
	v_fma_f64 v[14:15], v[80:81], -0.5, v[0:1]
	v_add_f64 v[0:1], v[0:1], v[54:55]
	v_add_f64 v[20:21], v[24:25], -v[64:65]
	v_add_f64 v[12:13], v[76:77], v[66:67]
	v_fma_f64 v[76:77], v[42:43], s[4:5], v[5:6]
	v_fma_f64 v[5:6], v[42:43], s[6:7], v[5:6]
	ds_write_b64 v28, v[22:23] offset:80
	v_mad_u32_u24 v7, v105, s0, 0
	v_lshlrev_b32_sdwa v22, v4, v106 dst_sel:DWORD dst_unused:UNUSED_PAD src0_sel:DWORD src1_sel:BYTE_0
	v_add3_u32 v7, v7, v22, v9
	v_add_f64 v[0:1], v[0:1], v[30:31]
	v_fma_f64 v[22:23], v[20:21], s[4:5], v[14:15]
	ds_write2_b64 v7, v[12:13], v[76:77] offset1:5
	v_add_f64 v[12:13], v[40:41], v[44:45]
	v_add_f64 v[42:43], v[68:69], v[32:33]
	ds_write_b64 v7, v[5:6] offset:80
	v_mad_u32_u24 v5, v107, s0, 0
	v_lshlrev_b32_sdwa v6, v4, v108 dst_sel:DWORD dst_unused:UNUSED_PAD src0_sel:DWORD src1_sel:BYTE_0
	v_add3_u32 v94, v5, v6, v9
	ds_write2_b64 v94, v[0:1], v[22:23] offset1:5
	v_add_f64 v[0:1], v[72:73], v[40:41]
	v_fma_f64 v[5:6], v[12:13], -0.5, v[72:73]
	v_fma_f64 v[12:13], v[42:43], -0.5, v[2:3]
	v_add_f64 v[40:41], v[46:47], -v[70:71]
	v_add_f64 v[2:3], v[2:3], v[68:69]
	v_add_f64 v[72:73], v[98:99], -v[26:27]
	v_add_f64 v[22:23], v[24:25], v[64:65]
	v_add_f64 v[26:27], v[46:47], v[70:71]
	;; [unrolled: 1-line block ×3, first 2 shown]
	v_fma_f64 v[0:1], v[20:21], s[6:7], v[14:15]
	v_add_f64 v[50:51], v[84:85], -v[50:51]
	v_fma_f64 v[14:15], v[40:41], s[4:5], v[12:13]
	v_add_f64 v[2:3], v[2:3], v[32:33]
	v_fma_f64 v[92:93], v[72:73], s[6:7], v[5:6]
	v_fma_f64 v[5:6], v[72:73], s[4:5], v[5:6]
	;; [unrolled: 1-line block ×3, first 2 shown]
	v_add_f64 v[58:59], v[58:59], -v[66:67]
	v_add_f64 v[80:81], v[16:17], v[24:25]
	v_fma_f64 v[86:87], v[22:23], -0.5, v[16:17]
	v_add_f64 v[30:31], v[54:55], -v[30:31]
	v_fma_f64 v[88:89], v[26:27], -0.5, v[18:19]
	v_add_f64 v[90:91], v[18:19], v[46:47]
	ds_write_b64 v94, v[0:1] offset:80
	v_mad_u32_u24 v0, v109, s0, 0
	v_lshlrev_b32_sdwa v1, v4, v110 dst_sel:DWORD dst_unused:UNUSED_PAD src0_sel:DWORD src1_sel:BYTE_0
	v_add_f64 v[32:33], v[68:69], -v[32:33]
	v_add3_u32 v95, v0, v1, v9
	ds_write2_b64 v95, v[2:3], v[14:15] offset1:5
	ds_write_b64 v95, v[12:13] offset:80
	s_waitcnt lgkmcnt(0)
	s_barrier
	ds_read_b64 v[100:101], v34
	ds_read2_b64 v[12:15], v38 offset0:45 offset1:54
	ds_read2_b64 v[16:19], v38 offset0:81 offset1:90
	ds_read2_b64 v[20:23], v38 offset0:9 offset1:18
	ds_read2_b64 v[24:27], v38 offset0:99 offset1:108
	ds_read2_b64 v[40:43], v38 offset0:63 offset1:72
	ds_read2_b64 v[0:3], v38 offset0:27 offset1:36
	ds_read2_b64 v[44:47], v38 offset0:117 offset1:126
	s_waitcnt lgkmcnt(0)
	s_barrier
	ds_write_b64 v61, v[5:6] offset:80
	v_add_f64 v[5:6], v[78:79], v[48:49]
	v_fma_f64 v[48:49], v[50:51], s[6:7], v[82:83]
	v_fma_f64 v[50:51], v[50:51], s[4:5], v[82:83]
	v_add_f64 v[52:53], v[52:53], v[56:57]
	v_fma_f64 v[54:55], v[58:59], s[6:7], v[74:75]
	v_fma_f64 v[56:57], v[58:59], s[4:5], v[74:75]
	;; [unrolled: 3-line block ×4, first 2 shown]
	ds_write2_b64 v61, v[76:77], v[92:93] offset1:5
	ds_write2_b64 v28, v[5:6], v[48:49] offset1:5
	ds_write_b64 v28, v[50:51] offset:80
	ds_write2_b64 v7, v[52:53], v[54:55] offset1:5
	ds_write_b64 v7, v[56:57] offset:80
	ds_write2_b64 v94, v[58:59], v[64:65] offset1:5
	ds_write_b64 v94, v[30:31] offset:80
	ds_write2_b64 v95, v[66:67], v[68:69] offset1:5
	ds_write_b64 v95, v[32:33] offset:80
	v_lshlrev_b32_e32 v28, 1, v60
	v_lshlrev_b64 v[5:6], 4, v[28:29]
	s_waitcnt lgkmcnt(0)
	v_add_co_u32_e64 v30, s[0:1], s8, v5
	v_addc_co_u32_e64 v31, s[0:1], v11, v6, s[0:1]
	v_add_u32_e32 v5, -6, v60
	v_cmp_gt_u32_e64 s[0:1], 6, v60
	v_cndmask_b32_e64 v7, v5, v39, s[0:1]
	v_lshlrev_b32_e32 v5, 1, v7
	v_mov_b32_e32 v6, v29
	v_lshlrev_b64 v[5:6], 4, v[5:6]
	s_barrier
	v_add_co_u32_e64 v5, s[0:1], s8, v5
	global_load_dwordx4 v[48:51], v[30:31], off offset:160
	v_addc_co_u32_e64 v6, s[0:1], v11, v6, s[0:1]
	global_load_dwordx4 v[52:55], v[5:6], off offset:160
	global_load_dwordx4 v[56:59], v[5:6], off offset:176
	v_add_u32_e32 v28, 6, v28
	v_lshlrev_b64 v[5:6], 4, v[28:29]
	v_lshlrev_b32_e32 v7, 3, v7
	v_add_co_u32_e64 v5, s[0:1], s8, v5
	v_addc_co_u32_e64 v6, s[0:1], v11, v6, s[0:1]
	global_load_dwordx4 v[64:67], v[5:6], off offset:176
	global_load_dwordx4 v[68:71], v[5:6], off offset:160
	;; [unrolled: 1-line block ×3, first 2 shown]
	s_movk_i32 s0, 0x89
	v_mul_lo_u16_sdwa v5, v36, s0 dst_sel:DWORD dst_unused:UNUSED_PAD src0_sel:BYTE_0 src1_sel:DWORD
	v_lshrrev_b16_e32 v28, 11, v5
	v_mul_lo_u16_e32 v5, 15, v28
	v_sub_u16_e32 v61, v36, v5
	v_lshlrev_b32_sdwa v5, v10, v61 dst_sel:DWORD dst_unused:UNUSED_PAD src0_sel:DWORD src1_sel:BYTE_0
	global_load_dwordx4 v[76:79], v5, s[8:9] offset:160
	v_mul_lo_u16_sdwa v6, v37, s0 dst_sel:DWORD dst_unused:UNUSED_PAD src0_sel:BYTE_0 src1_sel:DWORD
	v_lshrrev_b16_e32 v6, 11, v6
	v_mul_lo_u16_e32 v6, 15, v6
	v_sub_u16_e32 v6, v37, v6
	v_and_b32_e32 v104, 0xff, v6
	v_lshlrev_b32_e32 v6, 5, v104
	global_load_dwordx4 v[80:83], v6, s[8:9] offset:160
	global_load_dwordx4 v[84:87], v5, s[8:9] offset:176
	;; [unrolled: 1-line block ×3, first 2 shown]
	ds_read2_b64 v[92:95], v38 offset0:45 offset1:54
	ds_read2_b64 v[96:99], v38 offset0:99 offset1:108
	v_cmp_lt_u32_e64 s[0:1], 5, v60
	v_lshlrev_b32_sdwa v4, v4, v61 dst_sel:DWORD dst_unused:UNUSED_PAD src0_sel:DWORD src1_sel:BYTE_0
	v_lshl_add_u32 v61, v104, 3, v8
	s_waitcnt vmcnt(9)
	v_mul_f64 v[10:11], v[12:13], v[50:51]
	s_waitcnt lgkmcnt(1)
	v_mul_f64 v[5:6], v[92:93], v[50:51]
	s_waitcnt vmcnt(8)
	v_mul_f64 v[32:33], v[94:95], v[54:55]
	v_mul_f64 v[50:51], v[14:15], v[54:55]
	v_fma_f64 v[54:55], v[92:93], v[48:49], -v[10:11]
	s_waitcnt vmcnt(7) lgkmcnt(0)
	v_mul_f64 v[92:93], v[96:97], v[58:59]
	v_fma_f64 v[102:103], v[14:15], v[52:53], v[32:33]
	v_mul_f64 v[14:15], v[24:25], v[58:59]
	v_fma_f64 v[5:6], v[12:13], v[48:49], v[5:6]
	v_fma_f64 v[32:33], v[94:95], v[52:53], -v[50:51]
	ds_read2_b64 v[10:13], v38 offset0:63 offset1:72
	ds_read2_b64 v[48:51], v38 offset0:81 offset1:90
	s_waitcnt vmcnt(6)
	v_mul_f64 v[52:53], v[98:99], v[66:67]
	v_mul_f64 v[58:59], v[26:27], v[66:67]
	v_fma_f64 v[66:67], v[24:25], v[56:57], v[92:93]
	s_waitcnt vmcnt(5) lgkmcnt(1)
	v_mul_f64 v[24:25], v[10:11], v[70:71]
	v_fma_f64 v[56:57], v[96:97], v[56:57], -v[14:15]
	v_mul_f64 v[14:15], v[40:41], v[70:71]
	s_waitcnt vmcnt(4) lgkmcnt(0)
	v_mul_f64 v[70:71], v[50:51], v[74:75]
	v_mul_f64 v[74:75], v[18:19], v[74:75]
	v_fma_f64 v[52:53], v[26:27], v[64:65], v[52:53]
	v_fma_f64 v[58:59], v[98:99], v[64:65], -v[58:59]
	s_waitcnt vmcnt(3)
	v_mul_f64 v[64:65], v[12:13], v[78:79]
	v_mul_f64 v[78:79], v[42:43], v[78:79]
	v_fma_f64 v[40:41], v[40:41], v[68:69], v[24:25]
	ds_read2_b64 v[24:27], v38 offset0:117 offset1:126
	v_fma_f64 v[18:19], v[18:19], v[72:73], v[70:71]
	v_fma_f64 v[50:51], v[50:51], v[72:73], -v[74:75]
	s_waitcnt vmcnt(1)
	v_mul_f64 v[70:71], v[44:45], v[86:87]
	v_fma_f64 v[68:69], v[10:11], v[68:69], -v[14:15]
	v_fma_f64 v[42:43], v[42:43], v[76:77], v[64:65]
	v_fma_f64 v[64:65], v[12:13], v[76:77], -v[78:79]
	v_mul_f64 v[12:13], v[16:17], v[82:83]
	v_mul_f64 v[10:11], v[48:49], v[82:83]
	v_add_f64 v[72:73], v[5:6], v[18:19]
	s_waitcnt lgkmcnt(0)
	v_mul_f64 v[14:15], v[24:25], v[86:87]
	v_fma_f64 v[70:71], v[24:25], v[84:85], -v[70:71]
	v_fma_f64 v[48:49], v[48:49], v[80:81], -v[12:13]
	v_add_f64 v[12:13], v[100:101], v[5:6]
	v_fma_f64 v[24:25], v[72:73], -0.5, v[100:101]
	v_add_f64 v[72:73], v[54:55], -v[50:51]
	v_fma_f64 v[74:75], v[16:17], v[80:81], v[10:11]
	v_add_f64 v[80:81], v[102:103], v[66:67]
	s_waitcnt vmcnt(0)
	v_mul_f64 v[10:11], v[26:27], v[90:91]
	v_mul_f64 v[16:17], v[46:47], v[90:91]
	v_fma_f64 v[44:45], v[44:45], v[84:85], v[14:15]
	v_add_f64 v[78:79], v[12:13], v[18:19]
	v_add_f64 v[86:87], v[64:65], -v[70:71]
	v_fma_f64 v[82:83], v[72:73], s[4:5], v[24:25]
	v_fma_f64 v[24:25], v[72:73], s[6:7], v[24:25]
	v_fma_f64 v[72:73], v[80:81], -0.5, v[20:21]
	v_add_f64 v[20:21], v[20:21], v[102:103]
	v_add_f64 v[80:81], v[32:33], -v[56:57]
	v_fma_f64 v[46:47], v[46:47], v[88:89], v[10:11]
	v_fma_f64 v[76:77], v[26:27], v[88:89], -v[16:17]
	ds_read_b64 v[26:27], v34
	ds_read2_b64 v[10:13], v38 offset0:9 offset1:18
	ds_read2_b64 v[14:17], v38 offset0:27 offset1:36
	s_waitcnt lgkmcnt(0)
	s_barrier
	ds_write2_b64 v38, v[78:79], v[82:83] offset1:15
	ds_write_b64 v38, v[24:25] offset:240
	v_add_f64 v[24:25], v[40:41], v[52:53]
	v_mov_b32_e32 v78, 0x168
	v_cndmask_b32_e64 v82, 0, v78, s[0:1]
	v_add_f64 v[20:21], v[20:21], v[66:67]
	v_fma_f64 v[78:79], v[80:81], s[4:5], v[72:73]
	v_add_u32_e32 v82, 0, v82
	v_add_f64 v[84:85], v[42:43], v[44:45]
	v_add3_u32 v90, v82, v7, v9
	v_fma_f64 v[24:25], v[24:25], -0.5, v[22:23]
	v_add_f64 v[22:23], v[22:23], v[40:41]
	v_add_f64 v[82:83], v[68:69], -v[58:59]
	s_movk_i32 s0, 0x168
	ds_write2_b64 v90, v[20:21], v[78:79] offset1:15
	v_fma_f64 v[20:21], v[80:81], s[6:7], v[72:73]
	v_add_f64 v[72:73], v[32:33], v[56:57]
	v_add_f64 v[78:79], v[10:11], v[32:33]
	;; [unrolled: 1-line block ×3, first 2 shown]
	v_fma_f64 v[84:85], v[84:85], -0.5, v[0:1]
	v_add_f64 v[0:1], v[0:1], v[42:43]
	v_add_f64 v[22:23], v[22:23], v[52:53]
	v_fma_f64 v[80:81], v[82:83], s[4:5], v[24:25]
	v_fma_f64 v[24:25], v[82:83], s[6:7], v[24:25]
	v_fma_f64 v[72:73], v[72:73], -0.5, v[10:11]
	v_add_f64 v[68:69], v[12:13], v[68:69]
	v_fma_f64 v[82:83], v[32:33], -0.5, v[12:13]
	ds_write_b64 v90, v[20:21] offset:240
	ds_write2_b64 v38, v[22:23], v[80:81] offset0:48 offset1:63
	v_add_f64 v[0:1], v[0:1], v[44:45]
	v_fma_f64 v[10:11], v[86:87], s[4:5], v[84:85]
	v_add_f64 v[12:13], v[74:75], v[46:47]
	v_add_f64 v[20:21], v[54:55], v[50:51]
	v_mad_u32_u24 v7, v28, s0, 0
	v_add3_u32 v28, v7, v4, v9
	ds_write_b64 v38, v[24:25] offset:624
	v_add_f64 v[80:81], v[5:6], -v[18:19]
	v_add_f64 v[22:23], v[48:49], v[76:77]
	ds_write2_b64 v28, v[0:1], v[10:11] offset1:15
	v_add_f64 v[0:1], v[26:27], v[54:55]
	v_fma_f64 v[9:10], v[12:13], -0.5, v[2:3]
	v_add_f64 v[11:12], v[48:49], -v[76:77]
	v_add_f64 v[2:3], v[2:3], v[74:75]
	v_fma_f64 v[54:55], v[20:21], -0.5, v[26:27]
	v_add_f64 v[20:21], v[64:65], v[70:71]
	v_fma_f64 v[4:5], v[86:87], s[6:7], v[84:85]
	v_add_f64 v[66:67], v[102:103], -v[66:67]
	v_add_f64 v[50:51], v[0:1], v[50:51]
	v_add_f64 v[40:41], v[40:41], -v[52:53]
	v_fma_f64 v[6:7], v[11:12], s[4:5], v[9:10]
	v_add_f64 v[2:3], v[2:3], v[46:47]
	v_fma_f64 v[88:89], v[80:81], s[6:7], v[54:55]
	v_fma_f64 v[9:10], v[11:12], s[6:7], v[9:10]
	v_add_f64 v[64:65], v[14:15], v[64:65]
	v_fma_f64 v[84:85], v[20:21], -0.5, v[14:15]
	v_add_f64 v[42:43], v[42:43], -v[44:45]
	v_fma_f64 v[86:87], v[22:23], -0.5, v[16:17]
	v_add_f64 v[48:49], v[16:17], v[48:49]
	v_add_f64 v[46:47], v[74:75], -v[46:47]
	ds_write_b64 v28, v[4:5] offset:240
	ds_write2_b64 v61, v[2:3], v[6:7] offset0:90 offset1:105
	ds_write_b64 v61, v[9:10] offset:960
	s_waitcnt lgkmcnt(0)
	s_barrier
	ds_read_b64 v[32:33], v34
	ds_read2_b64 v[4:7], v38 offset0:45 offset1:54
	ds_read2_b64 v[8:11], v38 offset0:81 offset1:90
	;; [unrolled: 1-line block ×7, first 2 shown]
	s_waitcnt lgkmcnt(0)
	s_barrier
	ds_write2_b64 v38, v[50:51], v[88:89] offset1:15
	v_fma_f64 v[50:51], v[80:81], s[4:5], v[54:55]
	v_add_f64 v[52:53], v[78:79], v[56:57]
	v_fma_f64 v[44:45], v[66:67], s[6:7], v[72:73]
	v_fma_f64 v[54:55], v[66:67], s[4:5], v[72:73]
	v_add_f64 v[56:57], v[68:69], v[58:59]
	v_fma_f64 v[58:59], v[40:41], s[6:7], v[82:83]
	v_fma_f64 v[40:41], v[40:41], s[4:5], v[82:83]
	v_add_f64 v[64:65], v[64:65], v[70:71]
	v_fma_f64 v[66:67], v[42:43], s[6:7], v[84:85]
	v_fma_f64 v[42:43], v[42:43], s[4:5], v[84:85]
	v_add_f64 v[48:49], v[48:49], v[76:77]
	v_fma_f64 v[68:69], v[46:47], s[6:7], v[86:87]
	v_fma_f64 v[46:47], v[46:47], s[4:5], v[86:87]
	ds_write_b64 v38, v[50:51] offset:240
	ds_write2_b64 v90, v[52:53], v[44:45] offset1:15
	ds_write_b64 v90, v[54:55] offset:240
	ds_write2_b64 v38, v[56:57], v[58:59] offset0:48 offset1:63
	ds_write_b64 v38, v[40:41] offset:624
	ds_write2_b64 v28, v[64:65], v[66:67] offset1:15
	ds_write_b64 v28, v[42:43] offset:240
	ds_write2_b64 v61, v[48:49], v[68:69] offset0:90 offset1:105
	ds_write_b64 v61, v[46:47] offset:960
	s_waitcnt lgkmcnt(0)
	s_barrier
	s_and_saveexec_b64 s[0:1], vcc
	s_cbranch_execz .LBB0_12
; %bb.11:
	v_lshlrev_b32_e32 v28, 1, v37
	v_lshlrev_b64 v[40:41], 4, v[28:29]
	v_mov_b32_e32 v61, s9
	v_add_co_u32_e32 v68, vcc, s8, v40
	v_addc_co_u32_e32 v69, vcc, v61, v41, vcc
	global_load_dwordx4 v[40:43], v[68:69], off offset:656
	v_lshlrev_b32_e32 v28, 1, v36
	v_lshlrev_b64 v[52:53], 4, v[28:29]
	global_load_dwordx4 v[44:47], v[30:31], off offset:656
	global_load_dwordx4 v[48:51], v[30:31], off offset:640
	v_add_co_u32_e32 v30, vcc, s8, v52
	v_addc_co_u32_e32 v31, vcc, v61, v53, vcc
	v_lshlrev_b32_e32 v28, 1, v35
	global_load_dwordx4 v[52:55], v[30:31], off offset:656
	global_load_dwordx4 v[56:59], v[68:69], off offset:640
	;; [unrolled: 1-line block ×3, first 2 shown]
	v_lshlrev_b64 v[30:31], 4, v[28:29]
	v_lshlrev_b32_e32 v28, 1, v39
	v_add_co_u32_e32 v30, vcc, s8, v30
	v_addc_co_u32_e32 v31, vcc, v61, v31, vcc
	global_load_dwordx4 v[68:71], v[30:31], off offset:656
	global_load_dwordx4 v[72:75], v[30:31], off offset:640
	v_lshlrev_b64 v[30:31], 4, v[28:29]
	s_mov_b32 s0, 0x6c16c16d
	v_add_co_u32_e32 v30, vcc, s8, v30
	v_addc_co_u32_e32 v31, vcc, v61, v31, vcc
	global_load_dwordx4 v[76:79], v[30:31], off offset:640
	global_load_dwordx4 v[80:83], v[30:31], off offset:656
	ds_read2_b64 v[84:87], v38 offset0:27 offset1:36
	ds_read2_b64 v[88:91], v38 offset0:81 offset1:90
	;; [unrolled: 1-line block ×7, first 2 shown]
	v_mov_b32_e32 v61, v29
	s_waitcnt vmcnt(9)
	v_mul_f64 v[30:31], v[26:27], v[42:43]
	s_waitcnt lgkmcnt(4)
	v_mul_f64 v[38:39], v[94:95], v[42:43]
	s_waitcnt vmcnt(8)
	v_mul_f64 v[112:113], v[10:11], v[46:47]
	s_waitcnt vmcnt(7)
	v_mul_f64 v[42:43], v[4:5], v[50:51]
	s_waitcnt lgkmcnt(0)
	v_mul_f64 v[116:117], v[108:109], v[50:51]
	v_mul_f64 v[46:47], v[90:91], v[46:47]
	s_waitcnt vmcnt(6)
	v_mul_f64 v[114:115], v[24:25], v[54:55]
	v_mul_f64 v[50:51], v[92:93], v[54:55]
	v_fma_f64 v[30:31], v[94:95], v[40:41], -v[30:31]
	v_fma_f64 v[26:27], v[26:27], v[40:41], v[38:39]
	s_waitcnt vmcnt(5)
	v_mul_f64 v[38:39], v[8:9], v[58:59]
	v_mul_f64 v[40:41], v[88:89], v[58:59]
	s_waitcnt vmcnt(4)
	v_mul_f64 v[58:59], v[22:23], v[66:67]
	v_mul_f64 v[66:67], v[98:99], v[66:67]
	v_fma_f64 v[54:55], v[92:93], v[52:53], -v[114:115]
	v_fma_f64 v[24:25], v[24:25], v[52:53], v[50:51]
	s_waitcnt vmcnt(2)
	v_mul_f64 v[50:51], v[20:21], v[74:75]
	v_mul_f64 v[52:53], v[18:19], v[70:71]
	;; [unrolled: 1-line block ×4, first 2 shown]
	v_fma_f64 v[38:39], v[88:89], v[56:57], -v[38:39]
	v_fma_f64 v[8:9], v[8:9], v[56:57], v[40:41]
	s_waitcnt vmcnt(1)
	v_mul_f64 v[40:41], v[6:7], v[78:79]
	s_waitcnt vmcnt(0)
	v_mul_f64 v[56:57], v[16:17], v[82:83]
	v_fma_f64 v[58:59], v[98:99], v[64:65], -v[58:59]
	v_fma_f64 v[22:23], v[22:23], v[64:65], v[66:67]
	v_mul_f64 v[64:65], v[110:111], v[78:79]
	v_mul_f64 v[66:67], v[104:105], v[82:83]
	v_fma_f64 v[50:51], v[96:97], v[72:73], -v[50:51]
	v_fma_f64 v[52:53], v[106:107], v[68:69], -v[52:53]
	v_fma_f64 v[20:21], v[20:21], v[72:73], v[74:75]
	v_fma_f64 v[68:69], v[18:19], v[68:69], v[70:71]
	v_fma_f64 v[70:71], v[110:111], v[76:77], -v[40:41]
	v_fma_f64 v[72:73], v[104:105], v[80:81], -v[56:57]
	v_fma_f64 v[74:75], v[6:7], v[76:77], v[64:65]
	v_fma_f64 v[76:77], v[16:17], v[80:81], v[66:67]
	v_add_f64 v[6:7], v[38:39], v[30:31]
	v_add_f64 v[18:19], v[86:87], v[38:39]
	;; [unrolled: 1-line block ×5, first 2 shown]
	v_add_f64 v[16:17], v[8:9], -v[26:27]
	v_add_f64 v[38:39], v[38:39], -v[30:31]
	v_add_f64 v[56:57], v[14:15], v[8:9]
	v_add_f64 v[64:65], v[58:59], v[54:55]
	v_add_f64 v[66:67], v[22:23], -v[24:25]
	v_add_f64 v[58:59], v[58:59], -v[54:55]
	v_add_f64 v[22:23], v[12:13], v[22:23]
	v_add_f64 v[82:83], v[50:51], v[52:53]
	v_add_f64 v[88:89], v[20:21], -v[68:69]
	v_add_f64 v[92:93], v[102:103], v[50:51]
	v_add_f64 v[94:95], v[50:51], -v[52:53]
	v_add_f64 v[50:51], v[20:21], v[68:69]
	v_add_f64 v[96:97], v[2:3], v[20:21]
	;; [unrolled: 1-line block ×3, first 2 shown]
	v_fma_f64 v[20:21], v[6:7], -0.5, v[86:87]
	v_add_f64 v[8:9], v[18:19], v[30:31]
	v_fma_f64 v[30:31], v[40:41], -0.5, v[14:15]
	v_add_f64 v[14:15], v[78:79], v[54:55]
	v_fma_f64 v[54:55], v[80:81], -0.5, v[12:13]
	v_fma_f64 v[42:43], v[108:109], v[48:49], -v[42:43]
	v_fma_f64 v[78:79], v[90:91], v[44:45], -v[112:113]
	v_add_f64 v[6:7], v[56:57], v[26:27]
	v_fma_f64 v[56:57], v[64:65], -0.5, v[84:85]
	v_add_f64 v[12:13], v[22:23], v[24:25]
	v_fma_f64 v[64:65], v[82:83], -0.5, v[102:103]
	v_fma_f64 v[2:3], v[50:51], -0.5, v[2:3]
	v_fma_f64 v[22:23], v[16:17], s[4:5], v[20:21]
	v_fma_f64 v[26:27], v[16:17], s[6:7], v[20:21]
	v_fma_f64 v[20:21], v[38:39], s[6:7], v[30:31]
	v_fma_f64 v[24:25], v[38:39], s[4:5], v[30:31]
	v_fma_f64 v[38:39], v[58:59], s[6:7], v[54:55]
	v_fma_f64 v[50:51], v[58:59], s[4:5], v[54:55]
	v_fma_f64 v[30:31], v[98:99], -0.5, v[100:101]
	v_add_f64 v[58:59], v[74:75], -v[76:77]
	v_fma_f64 v[4:5], v[4:5], v[48:49], v[116:117]
	v_fma_f64 v[10:11], v[10:11], v[44:45], v[46:47]
	v_add_f64 v[16:17], v[96:97], v[68:69]
	v_add_f64 v[46:47], v[74:75], v[76:77]
	;; [unrolled: 1-line block ×5, first 2 shown]
	v_fma_f64 v[40:41], v[66:67], s[4:5], v[56:57]
	v_fma_f64 v[52:53], v[66:67], s[6:7], v[56:57]
	;; [unrolled: 1-line block ×8, first 2 shown]
	v_add_f64 v[30:31], v[70:71], -v[72:73]
	v_add_f64 v[70:71], v[4:5], v[10:11]
	ds_read_b64 v[58:59], v34
	v_fma_f64 v[46:47], v[46:47], -0.5, v[0:1]
	v_add_f64 v[48:49], v[48:49], v[72:73]
	v_add_f64 v[72:73], v[0:1], v[74:75]
	v_add_f64 v[74:75], v[4:5], -v[10:11]
	s_waitcnt lgkmcnt(0)
	v_fma_f64 v[68:69], v[68:69], -0.5, v[58:59]
	v_add_f64 v[58:59], v[58:59], v[42:43]
	v_add_f64 v[4:5], v[32:33], v[4:5]
	v_add_f64 v[80:81], v[42:43], -v[78:79]
	v_fma_f64 v[82:83], v[70:71], -0.5, v[32:33]
	v_fma_f64 v[0:1], v[30:31], s[6:7], v[46:47]
	v_fma_f64 v[42:43], v[30:31], s[4:5], v[46:47]
	v_add_f64 v[46:47], v[72:73], v[76:77]
	v_fma_f64 v[32:33], v[74:75], s[4:5], v[68:69]
	v_fma_f64 v[70:71], v[74:75], s[6:7], v[68:69]
	v_add_f64 v[74:75], v[58:59], v[78:79]
	v_add_f64 v[72:73], v[4:5], v[10:11]
	v_fma_f64 v[68:69], v[80:81], s[4:5], v[82:83]
	v_mov_b32_e32 v4, s3
	v_add_co_u32_e32 v10, vcc, s2, v62
	v_fma_f64 v[30:31], v[80:81], s[6:7], v[82:83]
	v_addc_co_u32_e32 v11, vcc, v4, v63, vcc
	v_lshlrev_b64 v[4:5], 4, v[60:61]
	v_add_co_u32_e32 v4, vcc, v10, v4
	v_mul_hi_u32 v10, v35, s0
	v_addc_co_u32_e32 v5, vcc, v11, v5, vcc
	global_store_dwordx4 v[4:5], v[72:75], off
	global_store_dwordx4 v[4:5], v[68:71], off offset:720
	global_store_dwordx4 v[4:5], v[30:33], off offset:1440
	;; [unrolled: 1-line block ×5, first 2 shown]
	s_nop 0
	v_sub_u32_e32 v0, v35, v10
	v_lshrrev_b32_e32 v0, 1, v0
	v_add_u32_e32 v0, v0, v10
	v_lshrrev_b32_e32 v0, 5, v0
	v_mul_u32_u24_e32 v28, 0x5a, v0
	v_lshlrev_b64 v[0:1], 4, v[28:29]
	v_mul_hi_u32 v2, v36, s0
	v_add_co_u32_e32 v0, vcc, v4, v0
	v_addc_co_u32_e32 v1, vcc, v5, v1, vcc
	global_store_dwordx4 v[0:1], v[16:19], off offset:288
	global_store_dwordx4 v[0:1], v[64:67], off offset:1008
	;; [unrolled: 1-line block ×3, first 2 shown]
	v_sub_u32_e32 v0, v36, v2
	v_lshrrev_b32_e32 v0, 1, v0
	v_add_u32_e32 v0, v0, v2
	v_lshrrev_b32_e32 v0, 5, v0
	v_mul_u32_u24_e32 v28, 0x5a, v0
	v_lshlrev_b64 v[0:1], 4, v[28:29]
	v_mul_hi_u32 v2, v37, s0
	v_add_co_u32_e32 v0, vcc, v4, v0
	v_addc_co_u32_e32 v1, vcc, v5, v1, vcc
	global_store_dwordx4 v[0:1], v[12:15], off offset:432
	global_store_dwordx4 v[0:1], v[50:53], off offset:1152
	;; [unrolled: 1-line block ×3, first 2 shown]
	v_sub_u32_e32 v0, v37, v2
	v_lshrrev_b32_e32 v0, 1, v0
	v_add_u32_e32 v0, v0, v2
	v_lshrrev_b32_e32 v0, 5, v0
	v_mul_u32_u24_e32 v28, 0x5a, v0
	v_lshlrev_b64 v[0:1], 4, v[28:29]
	v_add_co_u32_e32 v0, vcc, v4, v0
	v_addc_co_u32_e32 v1, vcc, v5, v1, vcc
	global_store_dwordx4 v[0:1], v[6:9], off offset:576
	global_store_dwordx4 v[0:1], v[24:27], off offset:1296
	;; [unrolled: 1-line block ×3, first 2 shown]
.LBB0_12:
	s_endpgm
	.section	.rodata,"a",@progbits
	.p2align	6, 0x0
	.amdhsa_kernel fft_rtc_back_len135_factors_5_3_3_3_wgs_126_tpt_9_halfLds_dp_ip_CI_unitstride_sbrr_dirReg
		.amdhsa_group_segment_fixed_size 0
		.amdhsa_private_segment_fixed_size 0
		.amdhsa_kernarg_size 88
		.amdhsa_user_sgpr_count 6
		.amdhsa_user_sgpr_private_segment_buffer 1
		.amdhsa_user_sgpr_dispatch_ptr 0
		.amdhsa_user_sgpr_queue_ptr 0
		.amdhsa_user_sgpr_kernarg_segment_ptr 1
		.amdhsa_user_sgpr_dispatch_id 0
		.amdhsa_user_sgpr_flat_scratch_init 0
		.amdhsa_user_sgpr_private_segment_size 0
		.amdhsa_uses_dynamic_stack 0
		.amdhsa_system_sgpr_private_segment_wavefront_offset 0
		.amdhsa_system_sgpr_workgroup_id_x 1
		.amdhsa_system_sgpr_workgroup_id_y 0
		.amdhsa_system_sgpr_workgroup_id_z 0
		.amdhsa_system_sgpr_workgroup_info 0
		.amdhsa_system_vgpr_workitem_id 0
		.amdhsa_next_free_vgpr 118
		.amdhsa_next_free_sgpr 22
		.amdhsa_reserve_vcc 1
		.amdhsa_reserve_flat_scratch 0
		.amdhsa_float_round_mode_32 0
		.amdhsa_float_round_mode_16_64 0
		.amdhsa_float_denorm_mode_32 3
		.amdhsa_float_denorm_mode_16_64 3
		.amdhsa_dx10_clamp 1
		.amdhsa_ieee_mode 1
		.amdhsa_fp16_overflow 0
		.amdhsa_exception_fp_ieee_invalid_op 0
		.amdhsa_exception_fp_denorm_src 0
		.amdhsa_exception_fp_ieee_div_zero 0
		.amdhsa_exception_fp_ieee_overflow 0
		.amdhsa_exception_fp_ieee_underflow 0
		.amdhsa_exception_fp_ieee_inexact 0
		.amdhsa_exception_int_div_zero 0
	.end_amdhsa_kernel
	.text
.Lfunc_end0:
	.size	fft_rtc_back_len135_factors_5_3_3_3_wgs_126_tpt_9_halfLds_dp_ip_CI_unitstride_sbrr_dirReg, .Lfunc_end0-fft_rtc_back_len135_factors_5_3_3_3_wgs_126_tpt_9_halfLds_dp_ip_CI_unitstride_sbrr_dirReg
                                        ; -- End function
	.section	.AMDGPU.csdata,"",@progbits
; Kernel info:
; codeLenInByte = 7760
; NumSgprs: 26
; NumVgprs: 118
; ScratchSize: 0
; MemoryBound: 1
; FloatMode: 240
; IeeeMode: 1
; LDSByteSize: 0 bytes/workgroup (compile time only)
; SGPRBlocks: 3
; VGPRBlocks: 29
; NumSGPRsForWavesPerEU: 26
; NumVGPRsForWavesPerEU: 118
; Occupancy: 2
; WaveLimiterHint : 1
; COMPUTE_PGM_RSRC2:SCRATCH_EN: 0
; COMPUTE_PGM_RSRC2:USER_SGPR: 6
; COMPUTE_PGM_RSRC2:TRAP_HANDLER: 0
; COMPUTE_PGM_RSRC2:TGID_X_EN: 1
; COMPUTE_PGM_RSRC2:TGID_Y_EN: 0
; COMPUTE_PGM_RSRC2:TGID_Z_EN: 0
; COMPUTE_PGM_RSRC2:TIDIG_COMP_CNT: 0
	.type	__hip_cuid_cbc7999f1da99c3d,@object ; @__hip_cuid_cbc7999f1da99c3d
	.section	.bss,"aw",@nobits
	.globl	__hip_cuid_cbc7999f1da99c3d
__hip_cuid_cbc7999f1da99c3d:
	.byte	0                               ; 0x0
	.size	__hip_cuid_cbc7999f1da99c3d, 1

	.ident	"AMD clang version 19.0.0git (https://github.com/RadeonOpenCompute/llvm-project roc-6.4.0 25133 c7fe45cf4b819c5991fe208aaa96edf142730f1d)"
	.section	".note.GNU-stack","",@progbits
	.addrsig
	.addrsig_sym __hip_cuid_cbc7999f1da99c3d
	.amdgpu_metadata
---
amdhsa.kernels:
  - .args:
      - .actual_access:  read_only
        .address_space:  global
        .offset:         0
        .size:           8
        .value_kind:     global_buffer
      - .offset:         8
        .size:           8
        .value_kind:     by_value
      - .actual_access:  read_only
        .address_space:  global
        .offset:         16
        .size:           8
        .value_kind:     global_buffer
      - .actual_access:  read_only
        .address_space:  global
        .offset:         24
        .size:           8
        .value_kind:     global_buffer
      - .offset:         32
        .size:           8
        .value_kind:     by_value
      - .actual_access:  read_only
        .address_space:  global
        .offset:         40
        .size:           8
        .value_kind:     global_buffer
      - .actual_access:  read_only
        .address_space:  global
        .offset:         48
        .size:           8
        .value_kind:     global_buffer
      - .offset:         56
        .size:           4
        .value_kind:     by_value
      - .actual_access:  read_only
        .address_space:  global
        .offset:         64
        .size:           8
        .value_kind:     global_buffer
      - .actual_access:  read_only
        .address_space:  global
        .offset:         72
        .size:           8
        .value_kind:     global_buffer
      - .address_space:  global
        .offset:         80
        .size:           8
        .value_kind:     global_buffer
    .group_segment_fixed_size: 0
    .kernarg_segment_align: 8
    .kernarg_segment_size: 88
    .language:       OpenCL C
    .language_version:
      - 2
      - 0
    .max_flat_workgroup_size: 126
    .name:           fft_rtc_back_len135_factors_5_3_3_3_wgs_126_tpt_9_halfLds_dp_ip_CI_unitstride_sbrr_dirReg
    .private_segment_fixed_size: 0
    .sgpr_count:     26
    .sgpr_spill_count: 0
    .symbol:         fft_rtc_back_len135_factors_5_3_3_3_wgs_126_tpt_9_halfLds_dp_ip_CI_unitstride_sbrr_dirReg.kd
    .uniform_work_group_size: 1
    .uses_dynamic_stack: false
    .vgpr_count:     118
    .vgpr_spill_count: 0
    .wavefront_size: 64
amdhsa.target:   amdgcn-amd-amdhsa--gfx906
amdhsa.version:
  - 1
  - 2
...

	.end_amdgpu_metadata
